;; amdgpu-corpus repo=ROCm/rocFFT kind=compiled arch=gfx1201 opt=O3
	.text
	.amdgcn_target "amdgcn-amd-amdhsa--gfx1201"
	.amdhsa_code_object_version 6
	.protected	fft_rtc_fwd_len550_factors_11_10_5_wgs_55_tpt_55_half_ip_CI_unitstride_sbrr_R2C_dirReg ; -- Begin function fft_rtc_fwd_len550_factors_11_10_5_wgs_55_tpt_55_half_ip_CI_unitstride_sbrr_R2C_dirReg
	.globl	fft_rtc_fwd_len550_factors_11_10_5_wgs_55_tpt_55_half_ip_CI_unitstride_sbrr_R2C_dirReg
	.p2align	8
	.type	fft_rtc_fwd_len550_factors_11_10_5_wgs_55_tpt_55_half_ip_CI_unitstride_sbrr_R2C_dirReg,@function
fft_rtc_fwd_len550_factors_11_10_5_wgs_55_tpt_55_half_ip_CI_unitstride_sbrr_R2C_dirReg: ; @fft_rtc_fwd_len550_factors_11_10_5_wgs_55_tpt_55_half_ip_CI_unitstride_sbrr_R2C_dirReg
; %bb.0:
	s_clause 0x2
	s_load_b128 s[4:7], s[0:1], 0x0
	s_load_b64 s[8:9], s[0:1], 0x50
	s_load_b64 s[10:11], s[0:1], 0x18
	v_mul_u32_u24_e32 v1, 0x4a8, v0
	v_mov_b32_e32 v3, 0
	s_delay_alu instid0(VALU_DEP_2) | instskip(NEXT) | instid1(VALU_DEP_1)
	v_lshrrev_b32_e32 v1, 16, v1
	v_add_nc_u32_e32 v5, ttmp9, v1
	v_mov_b32_e32 v1, 0
	v_mov_b32_e32 v2, 0
	;; [unrolled: 1-line block ×3, first 2 shown]
	s_wait_kmcnt 0x0
	v_cmp_lt_u64_e64 s2, s[6:7], 2
	s_delay_alu instid0(VALU_DEP_1)
	s_and_b32 vcc_lo, exec_lo, s2
	s_cbranch_vccnz .LBB0_8
; %bb.1:
	s_load_b64 s[2:3], s[0:1], 0x10
	v_mov_b32_e32 v1, 0
	v_mov_b32_e32 v2, 0
	s_add_nc_u64 s[12:13], s[10:11], 8
	s_mov_b64 s[14:15], 1
	s_wait_kmcnt 0x0
	s_add_nc_u64 s[16:17], s[2:3], 8
	s_mov_b32 s3, 0
.LBB0_2:                                ; =>This Inner Loop Header: Depth=1
	s_load_b64 s[18:19], s[16:17], 0x0
                                        ; implicit-def: $vgpr7_vgpr8
	s_mov_b32 s2, exec_lo
	s_wait_kmcnt 0x0
	v_or_b32_e32 v4, s19, v6
	s_delay_alu instid0(VALU_DEP_1)
	v_cmpx_ne_u64_e32 0, v[3:4]
	s_wait_alu 0xfffe
	s_xor_b32 s20, exec_lo, s2
	s_cbranch_execz .LBB0_4
; %bb.3:                                ;   in Loop: Header=BB0_2 Depth=1
	s_cvt_f32_u32 s2, s18
	s_cvt_f32_u32 s21, s19
	s_sub_nc_u64 s[24:25], 0, s[18:19]
	s_wait_alu 0xfffe
	s_delay_alu instid0(SALU_CYCLE_1) | instskip(SKIP_1) | instid1(SALU_CYCLE_2)
	s_fmamk_f32 s2, s21, 0x4f800000, s2
	s_wait_alu 0xfffe
	v_s_rcp_f32 s2, s2
	s_delay_alu instid0(TRANS32_DEP_1) | instskip(SKIP_1) | instid1(SALU_CYCLE_2)
	s_mul_f32 s2, s2, 0x5f7ffffc
	s_wait_alu 0xfffe
	s_mul_f32 s21, s2, 0x2f800000
	s_wait_alu 0xfffe
	s_delay_alu instid0(SALU_CYCLE_2) | instskip(SKIP_1) | instid1(SALU_CYCLE_2)
	s_trunc_f32 s21, s21
	s_wait_alu 0xfffe
	s_fmamk_f32 s2, s21, 0xcf800000, s2
	s_cvt_u32_f32 s23, s21
	s_wait_alu 0xfffe
	s_delay_alu instid0(SALU_CYCLE_1) | instskip(SKIP_1) | instid1(SALU_CYCLE_2)
	s_cvt_u32_f32 s22, s2
	s_wait_alu 0xfffe
	s_mul_u64 s[26:27], s[24:25], s[22:23]
	s_wait_alu 0xfffe
	s_mul_hi_u32 s29, s22, s27
	s_mul_i32 s28, s22, s27
	s_mul_hi_u32 s2, s22, s26
	s_mul_i32 s30, s23, s26
	s_wait_alu 0xfffe
	s_add_nc_u64 s[28:29], s[2:3], s[28:29]
	s_mul_hi_u32 s21, s23, s26
	s_mul_hi_u32 s31, s23, s27
	s_add_co_u32 s2, s28, s30
	s_wait_alu 0xfffe
	s_add_co_ci_u32 s2, s29, s21
	s_mul_i32 s26, s23, s27
	s_add_co_ci_u32 s27, s31, 0
	s_wait_alu 0xfffe
	s_add_nc_u64 s[26:27], s[2:3], s[26:27]
	s_wait_alu 0xfffe
	v_add_co_u32 v4, s2, s22, s26
	s_delay_alu instid0(VALU_DEP_1) | instskip(SKIP_1) | instid1(VALU_DEP_1)
	s_cmp_lg_u32 s2, 0
	s_add_co_ci_u32 s23, s23, s27
	v_readfirstlane_b32 s22, v4
	s_wait_alu 0xfffe
	s_delay_alu instid0(VALU_DEP_1)
	s_mul_u64 s[24:25], s[24:25], s[22:23]
	s_wait_alu 0xfffe
	s_mul_hi_u32 s27, s22, s25
	s_mul_i32 s26, s22, s25
	s_mul_hi_u32 s2, s22, s24
	s_mul_i32 s28, s23, s24
	s_wait_alu 0xfffe
	s_add_nc_u64 s[26:27], s[2:3], s[26:27]
	s_mul_hi_u32 s21, s23, s24
	s_mul_hi_u32 s22, s23, s25
	s_wait_alu 0xfffe
	s_add_co_u32 s2, s26, s28
	s_add_co_ci_u32 s2, s27, s21
	s_mul_i32 s24, s23, s25
	s_add_co_ci_u32 s25, s22, 0
	s_wait_alu 0xfffe
	s_add_nc_u64 s[24:25], s[2:3], s[24:25]
	s_wait_alu 0xfffe
	v_add_co_u32 v4, s2, v4, s24
	s_delay_alu instid0(VALU_DEP_1) | instskip(SKIP_1) | instid1(VALU_DEP_1)
	s_cmp_lg_u32 s2, 0
	s_add_co_ci_u32 s2, s23, s25
	v_mul_hi_u32 v13, v5, v4
	s_wait_alu 0xfffe
	v_mad_co_u64_u32 v[7:8], null, v5, s2, 0
	v_mad_co_u64_u32 v[9:10], null, v6, v4, 0
	;; [unrolled: 1-line block ×3, first 2 shown]
	s_delay_alu instid0(VALU_DEP_3) | instskip(SKIP_1) | instid1(VALU_DEP_4)
	v_add_co_u32 v4, vcc_lo, v13, v7
	s_wait_alu 0xfffd
	v_add_co_ci_u32_e32 v7, vcc_lo, 0, v8, vcc_lo
	s_delay_alu instid0(VALU_DEP_2) | instskip(SKIP_1) | instid1(VALU_DEP_2)
	v_add_co_u32 v4, vcc_lo, v4, v9
	s_wait_alu 0xfffd
	v_add_co_ci_u32_e32 v4, vcc_lo, v7, v10, vcc_lo
	s_wait_alu 0xfffd
	v_add_co_ci_u32_e32 v7, vcc_lo, 0, v12, vcc_lo
	s_delay_alu instid0(VALU_DEP_2) | instskip(SKIP_1) | instid1(VALU_DEP_2)
	v_add_co_u32 v4, vcc_lo, v4, v11
	s_wait_alu 0xfffd
	v_add_co_ci_u32_e32 v9, vcc_lo, 0, v7, vcc_lo
	s_delay_alu instid0(VALU_DEP_2) | instskip(SKIP_1) | instid1(VALU_DEP_3)
	v_mul_lo_u32 v10, s19, v4
	v_mad_co_u64_u32 v[7:8], null, s18, v4, 0
	v_mul_lo_u32 v11, s18, v9
	s_delay_alu instid0(VALU_DEP_2) | instskip(NEXT) | instid1(VALU_DEP_2)
	v_sub_co_u32 v7, vcc_lo, v5, v7
	v_add3_u32 v8, v8, v11, v10
	s_delay_alu instid0(VALU_DEP_1) | instskip(SKIP_1) | instid1(VALU_DEP_1)
	v_sub_nc_u32_e32 v10, v6, v8
	s_wait_alu 0xfffd
	v_subrev_co_ci_u32_e64 v10, s2, s19, v10, vcc_lo
	v_add_co_u32 v11, s2, v4, 2
	s_wait_alu 0xf1ff
	v_add_co_ci_u32_e64 v12, s2, 0, v9, s2
	v_sub_co_u32 v13, s2, v7, s18
	v_sub_co_ci_u32_e32 v8, vcc_lo, v6, v8, vcc_lo
	s_wait_alu 0xf1ff
	v_subrev_co_ci_u32_e64 v10, s2, 0, v10, s2
	s_delay_alu instid0(VALU_DEP_3) | instskip(NEXT) | instid1(VALU_DEP_3)
	v_cmp_le_u32_e32 vcc_lo, s18, v13
	v_cmp_eq_u32_e64 s2, s19, v8
	s_wait_alu 0xfffd
	v_cndmask_b32_e64 v13, 0, -1, vcc_lo
	v_cmp_le_u32_e32 vcc_lo, s19, v10
	s_wait_alu 0xfffd
	v_cndmask_b32_e64 v14, 0, -1, vcc_lo
	v_cmp_le_u32_e32 vcc_lo, s18, v7
	;; [unrolled: 3-line block ×3, first 2 shown]
	s_wait_alu 0xfffd
	v_cndmask_b32_e64 v15, 0, -1, vcc_lo
	v_cmp_eq_u32_e32 vcc_lo, s19, v10
	s_wait_alu 0xf1ff
	s_delay_alu instid0(VALU_DEP_2)
	v_cndmask_b32_e64 v7, v15, v7, s2
	s_wait_alu 0xfffd
	v_cndmask_b32_e32 v10, v14, v13, vcc_lo
	v_add_co_u32 v13, vcc_lo, v4, 1
	s_wait_alu 0xfffd
	v_add_co_ci_u32_e32 v14, vcc_lo, 0, v9, vcc_lo
	s_delay_alu instid0(VALU_DEP_3) | instskip(SKIP_2) | instid1(VALU_DEP_3)
	v_cmp_ne_u32_e32 vcc_lo, 0, v10
	s_wait_alu 0xfffd
	v_cndmask_b32_e32 v10, v13, v11, vcc_lo
	v_cndmask_b32_e32 v8, v14, v12, vcc_lo
	v_cmp_ne_u32_e32 vcc_lo, 0, v7
	s_wait_alu 0xfffd
	s_delay_alu instid0(VALU_DEP_2)
	v_dual_cndmask_b32 v7, v4, v10 :: v_dual_cndmask_b32 v8, v9, v8
.LBB0_4:                                ;   in Loop: Header=BB0_2 Depth=1
	s_wait_alu 0xfffe
	s_and_not1_saveexec_b32 s2, s20
	s_cbranch_execz .LBB0_6
; %bb.5:                                ;   in Loop: Header=BB0_2 Depth=1
	v_cvt_f32_u32_e32 v4, s18
	s_sub_co_i32 s20, 0, s18
	s_delay_alu instid0(VALU_DEP_1) | instskip(NEXT) | instid1(TRANS32_DEP_1)
	v_rcp_iflag_f32_e32 v4, v4
	v_mul_f32_e32 v4, 0x4f7ffffe, v4
	s_delay_alu instid0(VALU_DEP_1) | instskip(SKIP_1) | instid1(VALU_DEP_1)
	v_cvt_u32_f32_e32 v4, v4
	s_wait_alu 0xfffe
	v_mul_lo_u32 v7, s20, v4
	s_delay_alu instid0(VALU_DEP_1) | instskip(NEXT) | instid1(VALU_DEP_1)
	v_mul_hi_u32 v7, v4, v7
	v_add_nc_u32_e32 v4, v4, v7
	s_delay_alu instid0(VALU_DEP_1) | instskip(NEXT) | instid1(VALU_DEP_1)
	v_mul_hi_u32 v4, v5, v4
	v_mul_lo_u32 v7, v4, s18
	v_add_nc_u32_e32 v8, 1, v4
	s_delay_alu instid0(VALU_DEP_2) | instskip(NEXT) | instid1(VALU_DEP_1)
	v_sub_nc_u32_e32 v7, v5, v7
	v_subrev_nc_u32_e32 v9, s18, v7
	v_cmp_le_u32_e32 vcc_lo, s18, v7
	s_wait_alu 0xfffd
	s_delay_alu instid0(VALU_DEP_2) | instskip(NEXT) | instid1(VALU_DEP_1)
	v_dual_cndmask_b32 v7, v7, v9 :: v_dual_cndmask_b32 v4, v4, v8
	v_cmp_le_u32_e32 vcc_lo, s18, v7
	s_delay_alu instid0(VALU_DEP_2) | instskip(SKIP_1) | instid1(VALU_DEP_1)
	v_add_nc_u32_e32 v8, 1, v4
	s_wait_alu 0xfffd
	v_dual_cndmask_b32 v7, v4, v8 :: v_dual_mov_b32 v8, v3
.LBB0_6:                                ;   in Loop: Header=BB0_2 Depth=1
	s_wait_alu 0xfffe
	s_or_b32 exec_lo, exec_lo, s2
	s_load_b64 s[20:21], s[12:13], 0x0
	s_delay_alu instid0(VALU_DEP_1)
	v_mul_lo_u32 v4, v8, s18
	v_mul_lo_u32 v11, v7, s19
	v_mad_co_u64_u32 v[9:10], null, v7, s18, 0
	s_add_nc_u64 s[14:15], s[14:15], 1
	s_add_nc_u64 s[12:13], s[12:13], 8
	s_wait_alu 0xfffe
	v_cmp_ge_u64_e64 s2, s[14:15], s[6:7]
	s_add_nc_u64 s[16:17], s[16:17], 8
	s_delay_alu instid0(VALU_DEP_2) | instskip(NEXT) | instid1(VALU_DEP_3)
	v_add3_u32 v4, v10, v11, v4
	v_sub_co_u32 v5, vcc_lo, v5, v9
	s_wait_alu 0xfffd
	s_delay_alu instid0(VALU_DEP_2) | instskip(SKIP_3) | instid1(VALU_DEP_2)
	v_sub_co_ci_u32_e32 v4, vcc_lo, v6, v4, vcc_lo
	s_and_b32 vcc_lo, exec_lo, s2
	s_wait_kmcnt 0x0
	v_mul_lo_u32 v6, s21, v5
	v_mul_lo_u32 v4, s20, v4
	v_mad_co_u64_u32 v[1:2], null, s20, v5, v[1:2]
	s_delay_alu instid0(VALU_DEP_1)
	v_add3_u32 v2, v6, v2, v4
	s_wait_alu 0xfffe
	s_cbranch_vccnz .LBB0_9
; %bb.7:                                ;   in Loop: Header=BB0_2 Depth=1
	v_dual_mov_b32 v5, v7 :: v_dual_mov_b32 v6, v8
	s_branch .LBB0_2
.LBB0_8:
	v_dual_mov_b32 v8, v6 :: v_dual_mov_b32 v7, v5
.LBB0_9:
	s_lshl_b64 s[2:3], s[6:7], 3
	v_mul_hi_u32 v3, 0x4a7904b, v0
	s_wait_alu 0xfffe
	s_add_nc_u64 s[2:3], s[10:11], s[2:3]
	s_load_b64 s[2:3], s[2:3], 0x0
	s_load_b64 s[0:1], s[0:1], 0x20
	s_delay_alu instid0(VALU_DEP_1) | instskip(NEXT) | instid1(VALU_DEP_1)
	v_mul_u32_u24_e32 v3, 55, v3
	v_sub_nc_u32_e32 v0, v0, v3
	s_delay_alu instid0(VALU_DEP_1)
	v_lshl_add_u32 v14, v0, 2, 0
	s_wait_kmcnt 0x0
	v_mul_lo_u32 v4, s2, v8
	v_mul_lo_u32 v5, s3, v7
	v_mad_co_u64_u32 v[1:2], null, s2, v7, v[1:2]
	v_cmp_gt_u64_e32 vcc_lo, s[0:1], v[7:8]
	s_delay_alu instid0(VALU_DEP_2) | instskip(NEXT) | instid1(VALU_DEP_1)
	v_add3_u32 v2, v5, v2, v4
	v_lshlrev_b64_e32 v[2:3], 2, v[1:2]
	s_and_saveexec_b32 s1, vcc_lo
	s_cbranch_execz .LBB0_11
; %bb.10:
	v_mov_b32_e32 v1, 0
	v_add_nc_u32_e32 v15, 0x400, v14
	s_delay_alu instid0(VALU_DEP_2) | instskip(SKIP_3) | instid1(VALU_DEP_2)
	v_lshlrev_b64_e32 v[4:5], 2, v[0:1]
	v_add_co_u32 v1, s0, s8, v2
	s_wait_alu 0xf1ff
	v_add_co_ci_u32_e64 v6, s0, s9, v3, s0
	v_add_co_u32 v4, s0, v1, v4
	s_wait_alu 0xf1ff
	s_delay_alu instid0(VALU_DEP_2)
	v_add_co_ci_u32_e64 v5, s0, v6, v5, s0
	s_clause 0x9
	global_load_b32 v1, v[4:5], off
	global_load_b32 v6, v[4:5], off offset:220
	global_load_b32 v7, v[4:5], off offset:440
	;; [unrolled: 1-line block ×9, first 2 shown]
	v_add_nc_u32_e32 v5, 0x200, v14
	s_wait_loadcnt 0x8
	ds_store_2addr_b32 v14, v1, v6 offset1:55
	s_wait_loadcnt 0x6
	ds_store_2addr_b32 v14, v7, v8 offset0:110 offset1:165
	s_wait_loadcnt 0x4
	ds_store_2addr_b32 v5, v9, v10 offset0:92 offset1:147
	;; [unrolled: 2-line block ×4, first 2 shown]
.LBB0_11:
	s_wait_alu 0xfffe
	s_or_b32 exec_lo, exec_lo, s1
	v_add_nc_u32_e32 v1, 0x400, v14
	global_wb scope:SCOPE_SE
	s_wait_dscnt 0x0
	s_barrier_signal -1
	s_barrier_wait -1
	global_inv scope:SCOPE_SE
	ds_load_2addr_b32 v[4:5], v14 offset1:50
	ds_load_2addr_b32 v[12:13], v14 offset0:100 offset1:150
	ds_load_2addr_b32 v[10:11], v14 offset0:200 offset1:250
	;; [unrolled: 1-line block ×4, first 2 shown]
	ds_load_b32 v15, v14 offset:2000
	s_mov_b32 s1, exec_lo
	global_wb scope:SCOPE_SE
	s_wait_dscnt 0x0
	s_barrier_signal -1
	s_barrier_wait -1
	global_inv scope:SCOPE_SE
	v_cmpx_gt_u32_e32 50, v0
	s_cbranch_execz .LBB0_13
; %bb.12:
	v_pk_add_f16 v16, v4, v5
	v_pk_add_f16 v20, v13, v6 neg_lo:[0,1] neg_hi:[0,1]
	v_pk_add_f16 v21, v6, v13
	v_pk_add_f16 v18, v5, v15 neg_lo:[0,1] neg_hi:[0,1]
	v_pk_add_f16 v5, v15, v5
	v_pk_add_f16 v16, v16, v12
	v_pk_add_f16 v22, v10, v9 neg_lo:[0,1] neg_hi:[0,1]
	v_pk_add_f16 v19, v12, v7 neg_lo:[0,1] neg_hi:[0,1]
	v_pk_add_f16 v12, v7, v12
	v_lshrrev_b32_e32 v26, 16, v5
	v_pk_add_f16 v13, v16, v13
	v_pk_add_f16 v16, v9, v10
	v_pk_add_f16 v23, v11, v8 neg_lo:[0,1] neg_hi:[0,1]
	v_pk_add_f16 v24, v8, v11
	v_lshrrev_b32_e32 v25, 16, v4
	v_pk_add_f16 v10, v13, v10
	v_mul_f16_e32 v13, 0xba0c, v18
	v_mul_f16_e32 v27, 0x3beb, v19
	v_lshrrev_b32_e32 v28, 16, v12
	v_lshrrev_b32_e32 v29, 16, v21
	v_pk_add_f16 v10, v10, v11
	v_fmamk_f16 v31, v26, 0xb93d, v13
	v_mul_f16_e32 v11, 0xb853, v20
	v_fmamk_f16 v33, v28, 0xb08e, v27
	v_mul_f16_e32 v30, 0xb482, v22
	v_pk_add_f16 v8, v10, v8
	v_add_f16_e32 v31, v25, v31
	v_lshrrev_b32_e32 v10, 16, v16
	v_fmamk_f16 v35, v29, 0x3abb, v11
	v_lshrrev_b32_e32 v37, 16, v20
	v_pk_add_f16 v8, v8, v9
	v_lshrrev_b32_e32 v9, 16, v18
	v_add_f16_e32 v31, v33, v31
	v_lshrrev_b32_e32 v33, 16, v19
	v_fmamk_f16 v36, v10, 0xbbad, v30
	v_pk_add_f16 v6, v8, v6
	v_mul_f16_e32 v8, 0xba0c, v9
	v_add_f16_e32 v31, v35, v31
	v_mul_f16_e32 v35, 0x3beb, v33
	v_mul_f16_e32 v39, 0xb853, v37
	v_pk_add_f16 v6, v6, v7
	v_fma_f16 v7, v5, 0xb93d, -v8
	v_add_f16_e32 v31, v36, v31
	v_mul_f16_e32 v36, 0xbbeb, v18
	v_lshrrev_b32_e32 v40, 16, v22
	v_pk_add_f16 v6, v6, v15
	v_add_f16_e32 v7, v4, v7
	v_fma_f16 v15, v12, 0xb08e, -v35
	v_mul_f16_e32 v41, 0x3482, v19
	v_fma_f16 v42, v21, 0x3abb, -v39
	v_mul_f16_e32 v43, 0xb482, v40
	v_mul_f16_e32 v46, 0x3b47, v20
	v_add_f16_e32 v7, v15, v7
	v_fmamk_f16 v15, v26, 0xb08e, v36
	v_fmamk_f16 v45, v28, 0xbbad, v41
	v_mul_f16_e32 v32, 0x3b47, v23
	v_lshrrev_b32_e32 v34, 16, v24
	v_lshrrev_b32_e32 v44, 16, v23
	v_add_f16_e32 v15, v25, v15
	v_add_f16_e32 v7, v42, v7
	v_fma_f16 v42, v16, 0xbbad, -v43
	v_mul_f16_e32 v48, 0xb853, v22
	v_fmamk_f16 v38, v34, 0x36a6, v32
	v_add_f16_e32 v15, v45, v15
	v_fmamk_f16 v45, v29, 0x36a6, v46
	v_mul_f16_e32 v47, 0x3b47, v44
	v_add_f16_e32 v7, v42, v7
	v_mul_f16_e32 v42, 0xbbeb, v9
	v_fma_f16 v13, v26, 0xb93d, -v13
	v_add_f16_e32 v15, v45, v15
	v_fmamk_f16 v45, v10, 0x3abb, v48
	v_fma_f16 v49, v24, 0x36a6, -v47
	v_add_f16_e32 v31, v38, v31
	v_fma_f16 v38, v5, 0xb08e, -v42
	v_mul_f16_e32 v50, 0x3482, v33
	v_add_f16_e32 v15, v45, v15
	v_mul_f16_e32 v45, 0xb93d, v34
	v_add_f16_e32 v13, v25, v13
	v_fma_f16 v27, v28, 0xb08e, -v27
	v_add_f16_e32 v7, v49, v7
	v_add_f16_e32 v38, v4, v38
	v_fma_f16 v49, v12, 0xbbad, -v50
	v_mul_f16_e32 v51, 0x3b47, v37
	v_fmamk_f16 v53, v23, 0xba0c, v45
	v_mul_f16_e32 v54, 0xbb47, v18
	v_add_f16_e32 v13, v27, v13
	v_fma_f16 v11, v29, 0x3abb, -v11
	v_add_f16_e32 v38, v49, v38
	v_fma_f16 v49, v21, 0x36a6, -v51
	v_mul_f16_e32 v55, 0xb853, v40
	v_add_f16_e32 v15, v53, v15
	v_fmamk_f16 v53, v26, 0x36a6, v54
	v_mul_f16_e32 v56, 0xba0c, v19
	v_add_f16_e32 v11, v11, v13
	v_fma_f16 v13, v10, 0xbbad, -v30
	v_add_f16_e32 v38, v49, v38
	v_fma_f16 v49, v16, 0x3abb, -v55
	v_mul_f16_e32 v57, 0xba0c, v44
	v_add_f16_e32 v53, v25, v53
	v_fmamk_f16 v58, v28, 0xb93d, v56
	v_mul_f16_e32 v59, 0x3482, v20
	v_pk_mul_f16 v60, 0x3abb36a6, v5
	v_add_f16_e32 v11, v13, v11
	v_fma_f16 v13, v34, 0x36a6, -v32
	v_add_f16_e32 v38, v49, v38
	v_fma_f16 v49, v24, 0xb93d, -v57
	v_add_f16_e32 v53, v58, v53
	v_fmamk_f16 v58, v29, 0xbbad, v59
	v_pk_fma_f16 v61, 0xbb47b853, v18, v60 op_sel:[0,0,1] op_sel_hi:[1,1,0]
	v_pk_fma_f16 v60, 0xbb47b853, v18, v60 op_sel:[0,0,1] op_sel_hi:[1,1,0] neg_lo:[0,1,0] neg_hi:[0,1,0]
	v_pk_mul_f16 v62, 0x36a6b93d, v12
	v_add_f16_e32 v11, v13, v11
	v_fma_f16 v13, v26, 0xb08e, -v36
	v_fma_f16 v26, v26, 0x36a6, -v54
	v_add_f16_e32 v38, v49, v38
	v_add_f16_e32 v49, v58, v53
	v_mul_f16_e32 v53, 0x3beb, v22
	v_bfi_b32 v58, 0xffff, v61, v60
	v_pk_fma_f16 v63, 0xba0cbb47, v19, v62 op_sel:[0,0,1] op_sel_hi:[1,1,0]
	v_pk_fma_f16 v62, 0xba0cbb47, v19, v62 op_sel:[0,0,1] op_sel_hi:[1,1,0] neg_lo:[0,1,0] neg_hi:[0,1,0]
	v_pk_mul_f16 v64, 0xb08ebbad, v21
	v_fma_f16 v32, v28, 0xbbad, -v41
	v_add_f16_e32 v26, v25, v26
	v_fma_f16 v28, v28, 0xb93d, -v56
	v_fmamk_f16 v65, v10, 0xb08e, v53
	v_pk_add_f16 v58, v4, v58 op_sel:[1,0] op_sel_hi:[0,1]
	v_bfi_b32 v67, 0xffff, v63, v62
	v_pk_fma_f16 v68, 0x3482bbeb, v20, v64 op_sel:[0,0,1] op_sel_hi:[1,1,0]
	v_pk_fma_f16 v64, 0x3482bbeb, v20, v64 op_sel:[0,0,1] op_sel_hi:[1,1,0] neg_lo:[0,1,0] neg_hi:[0,1,0]
	v_add_f16_e32 v13, v25, v13
	v_add_f16_e32 v26, v28, v26
	v_fma_f16 v28, v29, 0xbbad, -v59
	v_mul_f16_e32 v66, 0x3853, v23
	v_add_f16_e32 v49, v65, v49
	v_pk_mul_f16 v65, 0xb93db08e, v16
	v_pk_add_f16 v58, v67, v58
	v_bfi_b32 v67, 0xffff, v68, v64
	v_mul_f16_e32 v9, 0xb853, v9
	v_add_f16_e32 v13, v32, v13
	v_fma_f16 v32, v29, 0x36a6, -v46
	v_fma_f16 v29, v10, 0x3abb, -v48
	v_add_f16_e32 v26, v28, v26
	v_fma_f16 v10, v10, 0xb08e, -v53
	v_pk_fma_f16 v70, 0x3bebba0c, v22, v65 op_sel:[0,0,1] op_sel_hi:[1,1,0]
	v_pk_fma_f16 v65, 0x3bebba0c, v22, v65 op_sel:[0,0,1] op_sel_hi:[1,1,0] neg_lo:[0,1,0] neg_hi:[0,1,0]
	v_pk_mul_f16 v71, 0xbbad3abb, v24
	v_pk_add_f16 v58, v67, v58
	v_fma_f16 v67, v5, 0x3abb, -v9
	v_mul_f16_e32 v33, 0xbb47, v33
	v_fmac_f16_e32 v8, 0xb93d, v5
	v_fmac_f16_e32 v42, 0xb08e, v5
	v_add_f16_e32 v13, v32, v13
	v_fmac_f16_e32 v9, 0x3abb, v5
	v_alignbit_b32 v28, s0, v61, 16
	v_add_f16_e32 v10, v10, v26
	v_fma_f16 v32, v34, 0x3abb, -v66
	v_pk_mul_f16 v5, 0xbbad, v5 op_sel_hi:[0,1]
	v_fmamk_f16 v69, v34, 0x3abb, v66
	v_bfi_b32 v72, 0xffff, v70, v65
	v_pk_fma_f16 v73, 0x3853b482, v23, v71 op_sel:[0,0,1] op_sel_hi:[1,1,0]
	v_pk_fma_f16 v74, 0x3853b482, v23, v71 op_sel:[0,0,1] op_sel_hi:[1,1,0] neg_lo:[0,1,0] neg_hi:[0,1,0]
	v_fma_f16 v75, v12, 0x36a6, -v33
	v_mul_f16_e32 v37, 0xbbeb, v37
	v_add_f16_e32 v8, v4, v8
	v_fmac_f16_e32 v35, 0xb08e, v12
	v_fmac_f16_e32 v50, 0xbbad, v12
	;; [unrolled: 1-line block ×3, first 2 shown]
	v_pk_add_f16 v26, v4, v28
	v_alignbit_b32 v28, s0, v63, 16
	v_add_f16_e32 v10, v32, v10
	v_pk_fma_f16 v32, 0xb482, v18, v5 op_sel:[0,0,1] op_sel_hi:[0,1,0] neg_lo:[0,1,0] neg_hi:[0,1,0]
	v_pk_mul_f16 v12, 0x3abb, v12 op_sel_hi:[0,1]
	v_add_f16_e32 v49, v69, v49
	v_pk_add_f16 v58, v72, v58
	v_bfi_b32 v69, 0xffff, v73, v74
	v_fma_f16 v72, v21, 0xb08e, -v37
	v_mul_f16_e32 v40, 0xba0c, v40
	v_add_f16_e32 v8, v35, v8
	v_fmac_f16_e32 v39, 0x3abb, v21
	v_fmac_f16_e32 v51, 0x36a6, v21
	v_fmac_f16_e32 v37, 0xb08e, v21
	v_pk_add_f16 v26, v28, v26
	v_alignbit_b32 v28, s0, v68, 16
	v_alignbit_b32 v34, s0, v32, 16
	v_pk_fma_f16 v35, 0x3853, v19, v12 op_sel:[0,0,1] op_sel_hi:[0,1,0] neg_lo:[0,1,0] neg_hi:[0,1,0]
	v_pk_mul_f16 v21, 0xb93d, v21 op_sel_hi:[0,1]
	v_add_f16_e32 v67, v4, v67
	v_pk_add_f16 v58, v69, v58
	v_fma_f16 v69, v16, 0xb93d, -v40
	v_fmac_f16_e32 v43, 0xbbad, v16
	v_fmac_f16_e32 v55, 0x3abb, v16
	;; [unrolled: 1-line block ×3, first 2 shown]
	v_pk_add_f16 v26, v28, v26
	v_alignbit_b32 v28, s0, v4, 16
	v_pack_b32_f16 v7, v7, v31
	v_pk_add_f16 v31, v4, v34
	v_alignbit_b32 v34, s0, v35, 16
	v_pk_fma_f16 v36, 0xba0c, v20, v21 op_sel:[0,0,1] op_sel_hi:[0,1,0] neg_lo:[0,1,0] neg_hi:[0,1,0]
	v_pk_mul_f16 v16, 0x36a6, v16 op_sel_hi:[0,1]
	v_pk_fma_f16 v5, 0xb482, v18, v5 op_sel:[0,0,1] op_sel_hi:[0,1,0]
	v_add_f16_e32 v67, v75, v67
	v_add_f16_e32 v30, v4, v42
	;; [unrolled: 1-line block ×3, first 2 shown]
	v_pk_add_f16 v28, v28, v32
	v_pk_add_f16 v18, v34, v31
	v_alignbit_b32 v31, s0, v36, 16
	v_pk_fma_f16 v32, 0x3b47, v22, v16 op_sel:[0,0,1] op_sel_hi:[0,1,0] neg_lo:[0,1,0] neg_hi:[0,1,0]
	v_pk_add_f16 v4, v4, v5 op_sel:[1,0] op_sel_hi:[0,1]
	v_pk_fma_f16 v5, 0x3853, v19, v12 op_sel:[0,0,1] op_sel_hi:[0,1,0]
	v_add_f16_e32 v25, v25, v60
	v_add_f16_e32 v67, v72, v67
	v_mul_f16_e32 v44, 0xb482, v44
	v_pk_add_f16 v28, v35, v28
	v_pk_add_f16 v12, v31, v18
	v_alignbit_b32 v18, s0, v32, 16
	v_pk_mul_f16 v19, 0xb08e, v24 op_sel_hi:[0,1]
	v_pk_add_f16 v4, v5, v4
	v_pk_fma_f16 v5, 0xba0c, v20, v21 op_sel:[0,0,1] op_sel_hi:[0,1,0]
	v_mul_f16_e32 v52, 0xba0c, v23
	v_pk_mul_f16 v73, 0x3853b482, v23
	v_add_f16_e32 v8, v39, v8
	v_add_f16_e32 v30, v50, v30
	v_lshlrev_b32_e32 v20, 16, v26
	v_add_f16_e32 v25, v62, v25
	v_add_f16_e32 v9, v33, v9
	;; [unrolled: 1-line block ×3, first 2 shown]
	v_fma_f16 v67, v24, 0xbbad, -v44
	v_fmac_f16_e32 v47, 0x36a6, v24
	v_fmac_f16_e32 v57, 0xb93d, v24
	;; [unrolled: 1-line block ×3, first 2 shown]
	v_pk_add_f16 v24, v36, v28
	v_pk_add_f16 v12, v18, v12
	v_pk_fma_f16 v18, 0xbbeb, v23, v19 op_sel:[0,0,1] op_sel_hi:[0,1,0] neg_lo:[0,1,0] neg_hi:[0,1,0]
	v_pk_add_f16 v4, v5, v4
	v_pk_fma_f16 v5, 0x3b47, v22, v16 op_sel:[0,0,1] op_sel_hi:[0,1,0]
	v_add_f16_e32 v8, v43, v8
	v_add_f16_e32 v30, v51, v30
	v_pk_add_f16 v16, v45, v52 neg_lo:[0,1] neg_hi:[0,1]
	v_pk_add_f16 v20, v70, v20
	v_pack_b32_f16 v22, v29, v71
	v_bfi_b32 v13, 0xffff, v13, v73
	v_add_f16_e32 v25, v64, v25
	v_add_f16_e32 v9, v37, v9
	v_pk_add_f16 v21, v32, v24
	v_pk_add_f16 v4, v5, v4
	v_pk_fma_f16 v5, 0xbbeb, v23, v19 op_sel:[0,0,1] op_sel_hi:[0,1,0]
	v_alignbit_b32 v19, s0, v18, 16
	v_add_f16_e32 v8, v47, v8
	v_add_f16_e32 v30, v55, v30
	v_bfi_b32 v16, 0xffff, v16, v20
	v_pk_add_f16 v13, v22, v13
	v_add_f16_e32 v25, v65, v25
	v_add_f16_e32 v9, v40, v9
	;; [unrolled: 1-line block ×3, first 2 shown]
	v_pk_add_f16 v18, v18, v21
	v_pk_add_f16 v4, v5, v4
	;; [unrolled: 1-line block ×3, first 2 shown]
	v_mad_u32_u24 v17, v0, 40, v14
	v_add_f16_e32 v30, v57, v30
	v_pack_b32_f16 v8, v8, v11
	v_pk_add_f16 v11, v16, v13
	v_add_f16_e32 v25, v74, v25
	v_add_f16_e32 v9, v44, v9
	v_alignbit_b32 v33, v49, v58, 16
	v_pack_b32_f16 v27, v27, v58
	v_pack_b32_f16 v12, v38, v15
	v_alignbit_b32 v13, v18, v4, 16
	v_pack_b32_f16 v4, v5, v4
	ds_store_2addr_b32 v17, v6, v8 offset1:7
	v_alignbit_b32 v5, v10, v11, 16
	v_pack_b32_f16 v6, v30, v11
	v_pack_b32_f16 v8, v9, v25
	ds_store_2addr_b32 v17, v27, v33 offset0:1 offset1:2
	ds_store_2addr_b32 v17, v12, v7 offset0:3 offset1:4
	;; [unrolled: 1-line block ×4, first 2 shown]
	ds_store_b32 v17, v8 offset:40
.LBB0_13:
	s_wait_alu 0xfffe
	s_or_b32 exec_lo, exec_lo, s1
	v_and_b32_e32 v4, 0xff, v0
	global_wb scope:SCOPE_SE
	s_wait_dscnt 0x0
	s_barrier_signal -1
	s_barrier_wait -1
	global_inv scope:SCOPE_SE
	v_mul_lo_u16 v4, 0x75, v4
	v_add_nc_u32_e32 v6, 0x200, v14
	s_mov_b32 s1, exec_lo
	s_delay_alu instid0(VALU_DEP_2) | instskip(NEXT) | instid1(VALU_DEP_1)
	v_lshrrev_b16 v4, 8, v4
	v_sub_nc_u16 v5, v0, v4
	s_delay_alu instid0(VALU_DEP_1) | instskip(NEXT) | instid1(VALU_DEP_1)
	v_lshrrev_b16 v5, 1, v5
	v_and_b32_e32 v5, 0x7f, v5
	s_delay_alu instid0(VALU_DEP_1) | instskip(SKIP_1) | instid1(VALU_DEP_2)
	v_add_nc_u16 v4, v5, v4
	v_mov_b32_e32 v5, 0
	v_lshrrev_b16 v13, 3, v4
	s_delay_alu instid0(VALU_DEP_2) | instskip(NEXT) | instid1(VALU_DEP_2)
	v_mov_b32_e32 v24, v5
	v_mul_lo_u16 v4, v13, 11
	v_and_b32_e32 v13, 0xffff, v13
	s_delay_alu instid0(VALU_DEP_2) | instskip(NEXT) | instid1(VALU_DEP_2)
	v_sub_nc_u16 v4, v0, v4
	v_mul_u32_u24_e32 v13, 0x1b8, v13
	s_delay_alu instid0(VALU_DEP_2) | instskip(NEXT) | instid1(VALU_DEP_1)
	v_and_b32_e32 v31, 0xff, v4
	v_mul_u32_u24_e32 v4, 9, v31
	v_lshlrev_b32_e32 v31, 2, v31
	s_delay_alu instid0(VALU_DEP_2) | instskip(NEXT) | instid1(VALU_DEP_2)
	v_lshlrev_b32_e32 v4, 2, v4
	v_add3_u32 v13, 0, v13, v31
	s_clause 0x2
	global_load_b128 v[7:10], v4, s[4:5]
	global_load_b128 v[15:18], v4, s[4:5] offset:16
	global_load_b32 v32, v4, s[4:5] offset:32
	ds_load_2addr_b32 v[11:12], v14 offset1:55
	ds_load_2addr_b32 v[19:20], v1 offset0:74 offset1:129
	ds_load_2addr_b32 v[21:22], v1 offset0:184 offset1:239
	;; [unrolled: 1-line block ×4, first 2 shown]
	v_lshlrev_b32_e32 v4, 2, v0
	global_wb scope:SCOPE_SE
	s_wait_loadcnt_dscnt 0x0
	s_barrier_signal -1
	s_barrier_wait -1
	global_inv scope:SCOPE_SE
	v_add_nc_u32_e32 v23, 0xdc, v4
	v_lshlrev_b64_e32 v[25:26], 2, v[4:5]
	s_delay_alu instid0(VALU_DEP_2) | instskip(NEXT) | instid1(VALU_DEP_2)
	v_lshlrev_b64_e32 v[23:24], 2, v[23:24]
	v_add_co_u32 v25, s0, s4, v25
	s_wait_alu 0xf1ff
	s_delay_alu instid0(VALU_DEP_3)
	v_add_co_ci_u32_e64 v26, s0, s5, v26, s0
	v_lshrrev_b32_e32 v38, 16, v12
	v_lshrrev_b32_e32 v34, 16, v19
	;; [unrolled: 1-line block ×10, first 2 shown]
	v_add_co_u32 v23, s0, s4, v23
	s_wait_alu 0xf1ff
	v_add_co_ci_u32_e64 v24, s0, s5, v24, s0
	v_lshrrev_b32_e32 v31, 16, v7
	v_lshrrev_b32_e32 v43, 16, v8
	;; [unrolled: 1-line block ×9, first 2 shown]
	v_mul_f16_e32 v51, v31, v38
	v_mul_f16_e32 v31, v31, v12
	;; [unrolled: 1-line block ×18, first 2 shown]
	v_fma_f16 v12, v7, v12, -v51
	v_fmac_f16_e32 v31, v7, v38
	v_fma_f16 v7, v8, v27, -v52
	v_fmac_f16_e32 v43, v8, v39
	;; [unrolled: 2-line block ×9, first 2 shown]
	v_add_f16_e32 v19, v11, v7
	v_add_f16_e32 v20, v9, v15
	v_sub_f16_e32 v21, v43, v49
	v_sub_f16_e32 v27, v7, v9
	;; [unrolled: 1-line block ×3, first 2 shown]
	v_add_f16_e32 v29, v7, v17
	v_add_f16_e32 v34, v33, v43
	;; [unrolled: 1-line block ×3, first 2 shown]
	v_sub_f16_e32 v37, v43, v45
	v_add_f16_e32 v39, v43, v49
	v_sub_f16_e32 v40, v45, v43
	v_add_f16_e32 v42, v12, v8
	v_add_f16_e32 v43, v10, v16
	;; [unrolled: 1-line block ×5, first 2 shown]
	v_sub_f16_e32 v30, v9, v7
	v_sub_f16_e32 v32, v15, v17
	;; [unrolled: 1-line block ×7, first 2 shown]
	v_add_f16_e32 v58, v31, v44
	v_sub_f16_e32 v8, v8, v18
	v_sub_f16_e32 v60, v10, v16
	v_add_f16_e32 v9, v19, v9
	v_fma_f16 v19, -0.5, v20, v11
	v_add_f16_e32 v20, v27, v28
	v_fmac_f16_e32 v11, -0.5, v29
	v_add_f16_e32 v28, v34, v45
	v_fma_f16 v29, -0.5, v35, v33
	v_fmac_f16_e32 v33, -0.5, v39
	v_add_f16_e32 v10, v42, v10
	v_fma_f16 v34, -0.5, v43, v12
	v_fma_f16 v39, -0.5, v59, v31
	v_sub_f16_e32 v52, v46, v48
	v_fmac_f16_e32 v12, -0.5, v55
	v_fmac_f16_e32 v31, -0.5, v63
	v_sub_f16_e32 v41, v47, v49
	v_sub_f16_e32 v54, v18, v16
	;; [unrolled: 1-line block ×7, first 2 shown]
	v_add_f16_e32 v27, v30, v32
	v_add_f16_e32 v30, v37, v38
	;; [unrolled: 1-line block ×4, first 2 shown]
	v_fmamk_f16 v16, v51, 0x3b9c, v34
	v_fmamk_f16 v46, v8, 0xbb9c, v39
	v_sub_f16_e32 v22, v45, v47
	v_add_f16_e32 v28, v28, v47
	v_fmamk_f16 v45, v52, 0xbb9c, v12
	v_fmac_f16_e32 v12, 0x3b9c, v52
	v_fmamk_f16 v47, v60, 0x3b9c, v31
	v_fmac_f16_e32 v31, 0xbb9c, v60
	v_sub_f16_e32 v7, v7, v17
	v_fmac_f16_e32 v34, 0xbb9c, v51
	v_fmac_f16_e32 v39, 0x3b9c, v8
	v_add_f16_e32 v32, v40, v41
	v_add_f16_e32 v35, v53, v54
	;; [unrolled: 1-line block ×5, first 2 shown]
	v_fmamk_f16 v44, v36, 0x3b9c, v33
	v_fmac_f16_e32 v33, 0xbb9c, v36
	v_add_f16_e32 v38, v38, v48
	v_fmac_f16_e32 v16, 0x38b4, v52
	v_fmac_f16_e32 v46, 0xb8b4, v60
	v_add_f16_e32 v37, v56, v57
	v_fmamk_f16 v15, v21, 0x3b9c, v19
	v_fmac_f16_e32 v19, 0xbb9c, v21
	v_fmamk_f16 v42, v22, 0xbb9c, v11
	v_fmac_f16_e32 v11, 0x3b9c, v22
	v_fmac_f16_e32 v45, 0x38b4, v51
	;; [unrolled: 1-line block ×5, first 2 shown]
	v_fmamk_f16 v43, v7, 0xbb9c, v29
	v_fmac_f16_e32 v29, 0x3b9c, v7
	v_fmac_f16_e32 v34, 0xb8b4, v52
	v_fmac_f16_e32 v39, 0x38b4, v60
	v_add_f16_e32 v9, v9, v17
	v_add_f16_e32 v17, v28, v49
	v_fmac_f16_e32 v44, 0xb8b4, v7
	v_fmac_f16_e32 v33, 0x38b4, v7
	v_add_f16_e32 v7, v10, v18
	v_add_f16_e32 v10, v38, v50
	v_fmac_f16_e32 v16, 0x34f2, v35
	v_fmac_f16_e32 v46, 0x34f2, v40
	;; [unrolled: 1-line block ×14, first 2 shown]
	v_add_f16_e32 v8, v9, v7
	v_add_f16_e32 v18, v17, v10
	v_sub_f16_e32 v7, v9, v7
	v_sub_f16_e32 v9, v17, v10
	v_mul_f16_e32 v10, 0x38b4, v46
	v_mul_f16_e32 v22, 0xb8b4, v16
	v_fmac_f16_e32 v15, 0x34f2, v20
	v_fmac_f16_e32 v19, 0x34f2, v20
	;; [unrolled: 1-line block ×4, first 2 shown]
	v_mul_f16_e32 v17, 0x3b9c, v47
	v_mul_f16_e32 v20, 0x34f2, v12
	;; [unrolled: 1-line block ×4, first 2 shown]
	v_fmac_f16_e32 v43, 0x34f2, v30
	v_fmac_f16_e32 v29, 0x34f2, v30
	v_mul_f16_e32 v21, 0x3a79, v34
	v_mul_f16_e32 v30, 0x3a79, v39
	v_fmac_f16_e32 v10, 0x3a79, v16
	v_fmac_f16_e32 v22, 0x3a79, v46
	;; [unrolled: 1-line block ×4, first 2 shown]
	v_pack_b32_f16 v7, v7, v9
	v_fmac_f16_e32 v17, 0x34f2, v45
	v_fma_f16 v9, v31, 0x3b9c, -v20
	v_fmac_f16_e32 v27, 0x34f2, v47
	v_fma_f16 v12, v12, 0xbb9c, -v28
	v_pack_b32_f16 v8, v8, v18
	v_fma_f16 v16, v39, 0x38b4, -v21
	v_fma_f16 v18, v34, 0xb8b4, -v30
	v_add_f16_e32 v20, v15, v10
	v_add_f16_e32 v31, v43, v22
	;; [unrolled: 1-line block ×8, first 2 shown]
	v_sub_f16_e32 v10, v15, v10
	v_sub_f16_e32 v15, v42, v17
	;; [unrolled: 1-line block ×8, first 2 shown]
	v_pack_b32_f16 v19, v20, v31
	v_pack_b32_f16 v20, v21, v32
	;; [unrolled: 1-line block ×8, first 2 shown]
	ds_store_2addr_b32 v13, v8, v19 offset1:11
	ds_store_2addr_b32 v13, v20, v21 offset0:22 offset1:33
	ds_store_2addr_b32 v13, v22, v7 offset0:44 offset1:55
	ds_store_2addr_b32 v13, v10, v15 offset0:66 offset1:77
	ds_store_2addr_b32 v13, v9, v11 offset0:88 offset1:99
	global_wb scope:SCOPE_SE
	s_wait_dscnt 0x0
	s_barrier_signal -1
	s_barrier_wait -1
	global_inv scope:SCOPE_SE
	s_clause 0x1
	global_load_b128 v[7:10], v[25:26], off offset:396
	global_load_b128 v[15:18], v[23:24], off offset:396
	ds_load_2addr_b32 v[11:12], v14 offset1:55
	ds_load_2addr_b32 v[19:20], v6 offset0:92 offset1:147
	ds_load_2addr_b32 v[21:22], v1 offset0:74 offset1:129
	;; [unrolled: 1-line block ×4, first 2 shown]
	global_wb scope:SCOPE_SE
	s_wait_loadcnt_dscnt 0x0
	s_barrier_signal -1
	s_barrier_wait -1
	global_inv scope:SCOPE_SE
	v_lshrrev_b32_e32 v13, 16, v11
	v_lshrrev_b32_e32 v28, 16, v20
	;; [unrolled: 1-line block ×18, first 2 shown]
	v_mul_f16_e32 v44, v36, v31
	v_mul_f16_e32 v36, v36, v25
	;; [unrolled: 1-line block ×16, first 2 shown]
	v_fma_f16 v25, v7, v25, -v44
	v_fmac_f16_e32 v36, v7, v31
	v_fma_f16 v7, v8, v19, -v45
	v_fmac_f16_e32 v37, v8, v32
	;; [unrolled: 2-line block ×8, first 2 shown]
	v_add_f16_e32 v18, v11, v25
	v_add_f16_e32 v19, v7, v8
	v_sub_f16_e32 v22, v25, v7
	v_sub_f16_e32 v23, v9, v8
	v_add_f16_e32 v24, v25, v9
	v_sub_f16_e32 v26, v7, v25
	v_sub_f16_e32 v28, v8, v9
	v_add_f16_e32 v29, v13, v36
	v_add_f16_e32 v30, v37, v38
	v_sub_f16_e32 v32, v36, v37
	v_sub_f16_e32 v33, v39, v38
	v_add_f16_e32 v34, v36, v39
	v_add_f16_e32 v44, v12, v10
	v_add_f16_e32 v45, v15, v16
	v_add_f16_e32 v53, v27, v40
	v_add_f16_e32 v54, v41, v42
	v_add_f16_e32 v50, v10, v17
	v_add_f16_e32 v58, v40, v43
	v_sub_f16_e32 v20, v36, v39
	v_sub_f16_e32 v25, v25, v9
	v_sub_f16_e32 v31, v7, v8
	v_sub_f16_e32 v46, v40, v43
	v_sub_f16_e32 v48, v10, v15
	v_sub_f16_e32 v51, v15, v10
	v_sub_f16_e32 v10, v10, v17
	v_sub_f16_e32 v55, v15, v16
	v_add_f16_e32 v7, v18, v7
	v_fma_f16 v18, -0.5, v19, v11
	v_add_f16_e32 v19, v22, v23
	v_fma_f16 v11, -0.5, v24, v11
	v_add_f16_e32 v22, v26, v28
	v_add_f16_e32 v23, v29, v37
	v_fma_f16 v24, -0.5, v30, v13
	v_add_f16_e32 v26, v32, v33
	v_fmac_f16_e32 v13, -0.5, v34
	v_add_f16_e32 v15, v44, v15
	v_fma_f16 v29, -0.5, v45, v12
	v_add_f16_e32 v33, v53, v41
	v_fma_f16 v34, -0.5, v54, v27
	v_sub_f16_e32 v21, v37, v38
	v_sub_f16_e32 v35, v37, v36
	;; [unrolled: 1-line block ×7, first 2 shown]
	v_fmac_f16_e32 v12, -0.5, v50
	v_fmac_f16_e32 v27, -0.5, v58
	v_sub_f16_e32 v49, v17, v16
	v_sub_f16_e32 v52, v16, v17
	;; [unrolled: 1-line block ×3, first 2 shown]
	v_add_f16_e32 v7, v7, v8
	v_fmamk_f16 v8, v20, 0x3b9c, v18
	v_add_f16_e32 v23, v23, v38
	v_fmamk_f16 v38, v25, 0xbb9c, v24
	v_add_f16_e32 v15, v15, v16
	v_fmamk_f16 v16, v46, 0x3b9c, v29
	v_add_f16_e32 v33, v33, v42
	v_fmamk_f16 v42, v10, 0xbb9c, v34
	v_add_f16_e32 v28, v35, v36
	v_add_f16_e32 v36, v40, v59
	v_fmamk_f16 v37, v21, 0xbb9c, v11
	v_fmamk_f16 v40, v31, 0x3b9c, v13
	;; [unrolled: 1-line block ×4, first 2 shown]
	v_fmac_f16_e32 v11, 0x3b9c, v21
	v_fmac_f16_e32 v13, 0xbb9c, v31
	;; [unrolled: 1-line block ×8, first 2 shown]
	v_add_f16_e32 v30, v48, v49
	v_add_f16_e32 v35, v56, v57
	v_fmac_f16_e32 v8, 0x38b4, v21
	v_fmac_f16_e32 v38, 0xb8b4, v31
	;; [unrolled: 1-line block ×4, first 2 shown]
	v_add_f16_e32 v32, v51, v52
	v_fmac_f16_e32 v37, 0x38b4, v20
	v_fmac_f16_e32 v40, 0xb8b4, v25
	;; [unrolled: 1-line block ×12, first 2 shown]
	v_add_f16_e32 v7, v7, v9
	v_add_f16_e32 v9, v23, v39
	;; [unrolled: 1-line block ×4, first 2 shown]
	v_fmac_f16_e32 v8, 0x34f2, v19
	v_fmac_f16_e32 v38, 0x34f2, v26
	;; [unrolled: 1-line block ×16, first 2 shown]
	v_pack_b32_f16 v7, v7, v9
	v_pack_b32_f16 v9, v15, v17
	;; [unrolled: 1-line block ×10, first 2 shown]
	ds_store_2addr_b32 v14, v7, v9 offset1:55
	ds_store_2addr_b32 v14, v8, v15 offset0:110 offset1:165
	ds_store_2addr_b32 v6, v10, v16 offset0:92 offset1:147
	;; [unrolled: 1-line block ×4, first 2 shown]
	global_wb scope:SCOPE_SE
	s_wait_dscnt 0x0
	s_barrier_signal -1
	s_barrier_wait -1
	global_inv scope:SCOPE_SE
	ds_load_b32 v11, v14
	v_sub_nc_u32_e32 v8, 0, v4
                                        ; implicit-def: $vgpr10
                                        ; implicit-def: $vgpr9
                                        ; implicit-def: $vgpr6_vgpr7
	s_wait_dscnt 0x0
	v_lshrrev_b32_e32 v4, 16, v11
	v_cmpx_ne_u32_e32 0, v0
	s_wait_alu 0xfffe
	s_xor_b32 s1, exec_lo, s1
	s_cbranch_execz .LBB0_15
; %bb.14:
	v_mov_b32_e32 v1, v5
	s_delay_alu instid0(VALU_DEP_1) | instskip(NEXT) | instid1(VALU_DEP_1)
	v_lshlrev_b64_e32 v[5:6], 2, v[0:1]
	v_add_co_u32 v5, s0, s4, v5
	s_wait_alu 0xf1ff
	s_delay_alu instid0(VALU_DEP_2)
	v_add_co_ci_u32_e64 v6, s0, s5, v6, s0
	global_load_b32 v5, v[5:6], off offset:2156
	ds_load_b32 v6, v8 offset:2200
	s_wait_dscnt 0x0
	v_lshrrev_b32_e32 v7, 16, v6
	v_sub_f16_e32 v9, v11, v6
	v_add_f16_e32 v6, v6, v11
	s_delay_alu instid0(VALU_DEP_3) | instskip(SKIP_1) | instid1(VALU_DEP_4)
	v_add_f16_e32 v10, v7, v4
	v_sub_f16_e32 v4, v4, v7
	v_mul_f16_e32 v7, 0.5, v9
	s_delay_alu instid0(VALU_DEP_3) | instskip(NEXT) | instid1(VALU_DEP_3)
	v_mul_f16_e32 v10, 0.5, v10
	v_mul_f16_e32 v4, 0.5, v4
	s_wait_loadcnt 0x0
	v_lshrrev_b32_e32 v9, 16, v5
	s_delay_alu instid0(VALU_DEP_1) | instskip(NEXT) | instid1(VALU_DEP_3)
	v_mul_f16_e32 v11, v9, v7
	v_fma_f16 v12, v10, v9, v4
	v_fma_f16 v4, v10, v9, -v4
	s_delay_alu instid0(VALU_DEP_3) | instskip(SKIP_1) | instid1(VALU_DEP_4)
	v_fma_f16 v9, 0.5, v6, v11
	v_fma_f16 v6, v6, 0.5, -v11
	v_fma_f16 v11, -v5, v7, v12
	s_delay_alu instid0(VALU_DEP_4)
	v_fma_f16 v4, -v5, v7, v4
	ds_store_b16 v14, v11 offset:2
	ds_store_b16 v8, v4 offset:2202
	v_fmac_f16_e32 v9, v5, v10
	v_fma_f16 v10, -v5, v10, v6
	v_dual_mov_b32 v7, v1 :: v_dual_mov_b32 v6, v0
                                        ; implicit-def: $vgpr4
                                        ; implicit-def: $vgpr11
.LBB0_15:
	s_wait_alu 0xfffe
	s_and_not1_saveexec_b32 s0, s1
	s_cbranch_execz .LBB0_17
; %bb.16:
	v_dual_mov_b32 v1, 0 :: v_dual_mov_b32 v6, 0
	v_add_f16_e32 v9, v4, v11
	v_mov_b32_e32 v7, 0
	v_sub_f16_e32 v10, v11, v4
	ds_store_b16 v14, v1 offset:2
	ds_store_b16 v8, v1 offset:2202
	ds_load_u16 v5, v1 offset:1102
	s_wait_dscnt 0x0
	v_xor_b32_e32 v5, 0x8000, v5
	ds_store_b16 v1, v5 offset:1102
.LBB0_17:
	s_wait_alu 0xfffe
	s_or_b32 exec_lo, exec_lo, s0
	v_lshlrev_b64_e32 v[4:5], 2, v[6:7]
	s_add_nc_u64 s[0:1], s[4:5], 0x86c
	s_wait_alu 0xfffe
	s_delay_alu instid0(VALU_DEP_1) | instskip(SKIP_1) | instid1(VALU_DEP_2)
	v_add_co_u32 v6, s0, s0, v4
	s_wait_alu 0xf1ff
	v_add_co_ci_u32_e64 v7, s0, s1, v5, s0
	s_clause 0x3
	global_load_b32 v1, v[6:7], off offset:220
	global_load_b32 v11, v[6:7], off offset:440
	;; [unrolled: 1-line block ×4, first 2 shown]
	ds_store_b16 v14, v9
	ds_store_b16 v8, v10 offset:2200
	ds_load_b32 v7, v14 offset:220
	ds_load_b32 v9, v8 offset:1980
	s_wait_dscnt 0x0
	v_pk_add_f16 v10, v7, v9 neg_lo:[0,1] neg_hi:[0,1]
	v_pk_add_f16 v7, v7, v9
	s_delay_alu instid0(VALU_DEP_1) | instskip(SKIP_1) | instid1(VALU_DEP_2)
	v_bfi_b32 v9, 0xffff, v10, v7
	v_bfi_b32 v7, 0xffff, v7, v10
	v_pk_mul_f16 v9, v9, 0.5 op_sel_hi:[1,0]
	s_delay_alu instid0(VALU_DEP_2) | instskip(NEXT) | instid1(VALU_DEP_1)
	v_pk_mul_f16 v10, v7, 0.5 op_sel_hi:[1,0]
	v_lshrrev_b32_e32 v15, 16, v10
	s_wait_loadcnt 0x3
	s_delay_alu instid0(VALU_DEP_3) | instskip(SKIP_1) | instid1(VALU_DEP_2)
	v_pk_mul_f16 v13, v1, v9 op_sel:[1,0]
	v_pk_mul_f16 v1, v1, v9 op_sel_hi:[0,1]
	v_lshrrev_b32_e32 v9, 16, v13
	v_pk_fma_f16 v7, v7, 0.5, v13 op_sel_hi:[1,0,1]
	v_sub_f16_e32 v10, v10, v13
	s_delay_alu instid0(VALU_DEP_3) | instskip(NEXT) | instid1(VALU_DEP_3)
	v_sub_f16_e32 v9, v9, v15
	v_pk_add_f16 v13, v7, v1 op_sel:[0,1] op_sel_hi:[1,0]
	v_pk_add_f16 v7, v7, v1 op_sel:[0,1] op_sel_hi:[1,0] neg_lo:[0,1] neg_hi:[0,1]
	v_lshrrev_b32_e32 v15, 16, v1
	s_delay_alu instid0(VALU_DEP_4) | instskip(NEXT) | instid1(VALU_DEP_3)
	v_sub_f16_e32 v1, v9, v1
	v_bfi_b32 v7, 0xffff, v13, v7
	s_delay_alu instid0(VALU_DEP_3)
	v_sub_f16_e32 v9, v10, v15
	ds_store_b16 v8, v1 offset:1982
	ds_store_b32 v14, v7 offset:220
	ds_store_b16 v8, v9 offset:1980
	ds_load_b32 v1, v14 offset:440
	ds_load_b32 v7, v8 offset:1760
	s_wait_dscnt 0x0
	v_pk_add_f16 v9, v1, v7 neg_lo:[0,1] neg_hi:[0,1]
	v_pk_add_f16 v1, v1, v7
	s_delay_alu instid0(VALU_DEP_1) | instskip(SKIP_1) | instid1(VALU_DEP_2)
	v_bfi_b32 v7, 0xffff, v9, v1
	v_bfi_b32 v1, 0xffff, v1, v9
	v_pk_mul_f16 v7, v7, 0.5 op_sel_hi:[1,0]
	s_delay_alu instid0(VALU_DEP_2) | instskip(SKIP_1) | instid1(VALU_DEP_2)
	v_pk_mul_f16 v9, v1, 0.5 op_sel_hi:[1,0]
	s_wait_loadcnt 0x2
	v_pk_mul_f16 v10, v11, v7 op_sel:[1,0]
	v_pk_mul_f16 v7, v11, v7 op_sel_hi:[0,1]
	s_delay_alu instid0(VALU_DEP_3) | instskip(NEXT) | instid1(VALU_DEP_3)
	v_lshrrev_b32_e32 v11, 16, v9
	v_lshrrev_b32_e32 v13, 16, v10
	v_pk_fma_f16 v1, v1, 0.5, v10 op_sel_hi:[1,0,1]
	v_sub_f16_e32 v9, v9, v10
	s_delay_alu instid0(VALU_DEP_3) | instskip(NEXT) | instid1(VALU_DEP_3)
	v_sub_f16_e32 v11, v13, v11
	v_pk_add_f16 v10, v1, v7 op_sel:[0,1] op_sel_hi:[1,0]
	v_pk_add_f16 v1, v1, v7 op_sel:[0,1] op_sel_hi:[1,0] neg_lo:[0,1] neg_hi:[0,1]
	v_lshrrev_b32_e32 v13, 16, v7
	s_delay_alu instid0(VALU_DEP_4) | instskip(NEXT) | instid1(VALU_DEP_3)
	v_sub_f16_e32 v7, v11, v7
	v_bfi_b32 v1, 0xffff, v10, v1
	s_delay_alu instid0(VALU_DEP_3)
	v_sub_f16_e32 v9, v9, v13
	ds_store_b16 v8, v7 offset:1762
	ds_store_b32 v14, v1 offset:440
	ds_store_b16 v8, v9 offset:1760
	ds_load_b32 v1, v14 offset:660
	ds_load_b32 v7, v8 offset:1540
	s_wait_dscnt 0x0
	v_pk_add_f16 v9, v1, v7 neg_lo:[0,1] neg_hi:[0,1]
	v_pk_add_f16 v1, v1, v7
	s_delay_alu instid0(VALU_DEP_1) | instskip(SKIP_1) | instid1(VALU_DEP_2)
	v_bfi_b32 v7, 0xffff, v9, v1
	v_bfi_b32 v1, 0xffff, v1, v9
	v_pk_mul_f16 v7, v7, 0.5 op_sel_hi:[1,0]
	s_delay_alu instid0(VALU_DEP_2) | instskip(SKIP_1) | instid1(VALU_DEP_2)
	v_pk_mul_f16 v9, v1, 0.5 op_sel_hi:[1,0]
	s_wait_loadcnt 0x1
	v_pk_mul_f16 v10, v12, v7 op_sel:[1,0]
	v_pk_mul_f16 v7, v12, v7 op_sel_hi:[0,1]
	s_delay_alu instid0(VALU_DEP_3) | instskip(NEXT) | instid1(VALU_DEP_3)
	v_lshrrev_b32_e32 v11, 16, v9
	v_lshrrev_b32_e32 v12, 16, v10
	v_pk_fma_f16 v1, v1, 0.5, v10 op_sel_hi:[1,0,1]
	v_sub_f16_e32 v9, v9, v10
	s_delay_alu instid0(VALU_DEP_3) | instskip(NEXT) | instid1(VALU_DEP_3)
	v_sub_f16_e32 v11, v12, v11
	v_pk_add_f16 v10, v1, v7 op_sel:[0,1] op_sel_hi:[1,0]
	v_pk_add_f16 v1, v1, v7 op_sel:[0,1] op_sel_hi:[1,0] neg_lo:[0,1] neg_hi:[0,1]
	v_lshrrev_b32_e32 v12, 16, v7
	s_delay_alu instid0(VALU_DEP_4) | instskip(NEXT) | instid1(VALU_DEP_3)
	v_sub_f16_e32 v7, v11, v7
	v_bfi_b32 v1, 0xffff, v10, v1
	s_delay_alu instid0(VALU_DEP_3)
	v_sub_f16_e32 v9, v9, v12
	ds_store_b16 v8, v7 offset:1542
	ds_store_b32 v14, v1 offset:660
	ds_store_b16 v8, v9 offset:1540
	ds_load_b32 v1, v14 offset:880
	ds_load_b32 v7, v8 offset:1320
	s_wait_dscnt 0x0
	v_pk_add_f16 v9, v1, v7 neg_lo:[0,1] neg_hi:[0,1]
	v_pk_add_f16 v1, v1, v7
	s_delay_alu instid0(VALU_DEP_1) | instskip(SKIP_1) | instid1(VALU_DEP_2)
	v_bfi_b32 v7, 0xffff, v9, v1
	v_bfi_b32 v1, 0xffff, v1, v9
	v_pk_mul_f16 v7, v7, 0.5 op_sel_hi:[1,0]
	s_delay_alu instid0(VALU_DEP_2) | instskip(SKIP_1) | instid1(VALU_DEP_2)
	v_pk_mul_f16 v1, v1, 0.5 op_sel_hi:[1,0]
	s_wait_loadcnt 0x0
	v_pk_mul_f16 v10, v6, v7 op_sel_hi:[0,1]
	s_delay_alu instid0(VALU_DEP_2) | instskip(SKIP_2) | instid1(VALU_DEP_3)
	v_pk_fma_f16 v9, v6, v7, v1 op_sel:[1,0,0]
	v_pk_fma_f16 v11, v6, v7, v1 op_sel:[1,0,0] neg_lo:[1,0,0] neg_hi:[1,0,0]
	v_pk_fma_f16 v1, v6, v7, v1 op_sel:[1,0,0] neg_lo:[0,0,1] neg_hi:[0,0,1]
	v_pk_add_f16 v6, v9, v10 op_sel:[0,1] op_sel_hi:[1,0]
	v_pk_add_f16 v7, v9, v10 op_sel:[0,1] op_sel_hi:[1,0] neg_lo:[0,1] neg_hi:[0,1]
	s_delay_alu instid0(VALU_DEP_4) | instskip(NEXT) | instid1(VALU_DEP_4)
	v_pk_add_f16 v9, v11, v10 op_sel:[0,1] op_sel_hi:[1,0] neg_lo:[0,1] neg_hi:[0,1]
	v_pk_add_f16 v1, v1, v10 op_sel:[0,1] op_sel_hi:[1,0] neg_lo:[0,1] neg_hi:[0,1]
	s_delay_alu instid0(VALU_DEP_3) | instskip(NEXT) | instid1(VALU_DEP_2)
	v_bfi_b32 v6, 0xffff, v6, v7
	v_bfi_b32 v1, 0xffff, v9, v1
	ds_store_b32 v14, v6 offset:880
	ds_store_b32 v8, v1 offset:1320
	global_wb scope:SCOPE_SE
	s_wait_dscnt 0x0
	s_barrier_signal -1
	s_barrier_wait -1
	global_inv scope:SCOPE_SE
	s_and_saveexec_b32 s0, vcc_lo
	s_cbranch_execz .LBB0_20
; %bb.18:
	v_add_nc_u32_e32 v1, 0x200, v14
	v_add_nc_u32_e32 v15, 0x400, v14
	ds_load_2addr_b32 v[6:7], v14 offset1:55
	ds_load_2addr_b32 v[8:9], v14 offset0:110 offset1:165
	ds_load_2addr_b32 v[10:11], v1 offset0:92 offset1:147
	;; [unrolled: 1-line block ×4, first 2 shown]
	v_add_co_u32 v1, vcc_lo, s8, v2
	s_wait_alu 0xfffd
	v_add_co_ci_u32_e32 v2, vcc_lo, s9, v3, vcc_lo
	s_delay_alu instid0(VALU_DEP_2) | instskip(SKIP_1) | instid1(VALU_DEP_2)
	v_add_co_u32 v3, vcc_lo, v1, v4
	s_wait_alu 0xfffd
	v_add_co_ci_u32_e32 v4, vcc_lo, v2, v5, vcc_lo
	v_cmp_eq_u32_e32 vcc_lo, 54, v0
	s_wait_dscnt 0x4
	s_clause 0x1
	global_store_b32 v[3:4], v6, off
	global_store_b32 v[3:4], v7, off offset:220
	s_wait_dscnt 0x3
	s_clause 0x1
	global_store_b32 v[3:4], v8, off offset:440
	global_store_b32 v[3:4], v9, off offset:660
	s_wait_dscnt 0x2
	s_clause 0x1
	global_store_b32 v[3:4], v10, off offset:880
	global_store_b32 v[3:4], v11, off offset:1100
	s_wait_dscnt 0x1
	s_clause 0x1
	global_store_b32 v[3:4], v12, off offset:1320
	global_store_b32 v[3:4], v13, off offset:1540
	s_wait_dscnt 0x0
	s_clause 0x1
	global_store_b32 v[3:4], v14, off offset:1760
	global_store_b32 v[3:4], v15, off offset:1980
	s_and_b32 exec_lo, exec_lo, vcc_lo
	s_cbranch_execz .LBB0_20
; %bb.19:
	v_mov_b32_e32 v0, 0
	ds_load_b32 v0, v0 offset:2200
	s_wait_dscnt 0x0
	global_store_b32 v[1:2], v0, off offset:2200
.LBB0_20:
	s_nop 0
	s_sendmsg sendmsg(MSG_DEALLOC_VGPRS)
	s_endpgm
	.section	.rodata,"a",@progbits
	.p2align	6, 0x0
	.amdhsa_kernel fft_rtc_fwd_len550_factors_11_10_5_wgs_55_tpt_55_half_ip_CI_unitstride_sbrr_R2C_dirReg
		.amdhsa_group_segment_fixed_size 0
		.amdhsa_private_segment_fixed_size 0
		.amdhsa_kernarg_size 88
		.amdhsa_user_sgpr_count 2
		.amdhsa_user_sgpr_dispatch_ptr 0
		.amdhsa_user_sgpr_queue_ptr 0
		.amdhsa_user_sgpr_kernarg_segment_ptr 1
		.amdhsa_user_sgpr_dispatch_id 0
		.amdhsa_user_sgpr_private_segment_size 0
		.amdhsa_wavefront_size32 1
		.amdhsa_uses_dynamic_stack 0
		.amdhsa_enable_private_segment 0
		.amdhsa_system_sgpr_workgroup_id_x 1
		.amdhsa_system_sgpr_workgroup_id_y 0
		.amdhsa_system_sgpr_workgroup_id_z 0
		.amdhsa_system_sgpr_workgroup_info 0
		.amdhsa_system_vgpr_workitem_id 0
		.amdhsa_next_free_vgpr 76
		.amdhsa_next_free_sgpr 32
		.amdhsa_reserve_vcc 1
		.amdhsa_float_round_mode_32 0
		.amdhsa_float_round_mode_16_64 0
		.amdhsa_float_denorm_mode_32 3
		.amdhsa_float_denorm_mode_16_64 3
		.amdhsa_fp16_overflow 0
		.amdhsa_workgroup_processor_mode 1
		.amdhsa_memory_ordered 1
		.amdhsa_forward_progress 0
		.amdhsa_round_robin_scheduling 0
		.amdhsa_exception_fp_ieee_invalid_op 0
		.amdhsa_exception_fp_denorm_src 0
		.amdhsa_exception_fp_ieee_div_zero 0
		.amdhsa_exception_fp_ieee_overflow 0
		.amdhsa_exception_fp_ieee_underflow 0
		.amdhsa_exception_fp_ieee_inexact 0
		.amdhsa_exception_int_div_zero 0
	.end_amdhsa_kernel
	.text
.Lfunc_end0:
	.size	fft_rtc_fwd_len550_factors_11_10_5_wgs_55_tpt_55_half_ip_CI_unitstride_sbrr_R2C_dirReg, .Lfunc_end0-fft_rtc_fwd_len550_factors_11_10_5_wgs_55_tpt_55_half_ip_CI_unitstride_sbrr_R2C_dirReg
                                        ; -- End function
	.section	.AMDGPU.csdata,"",@progbits
; Kernel info:
; codeLenInByte = 8336
; NumSgprs: 34
; NumVgprs: 76
; ScratchSize: 0
; MemoryBound: 0
; FloatMode: 240
; IeeeMode: 1
; LDSByteSize: 0 bytes/workgroup (compile time only)
; SGPRBlocks: 4
; VGPRBlocks: 9
; NumSGPRsForWavesPerEU: 34
; NumVGPRsForWavesPerEU: 76
; Occupancy: 16
; WaveLimiterHint : 1
; COMPUTE_PGM_RSRC2:SCRATCH_EN: 0
; COMPUTE_PGM_RSRC2:USER_SGPR: 2
; COMPUTE_PGM_RSRC2:TRAP_HANDLER: 0
; COMPUTE_PGM_RSRC2:TGID_X_EN: 1
; COMPUTE_PGM_RSRC2:TGID_Y_EN: 0
; COMPUTE_PGM_RSRC2:TGID_Z_EN: 0
; COMPUTE_PGM_RSRC2:TIDIG_COMP_CNT: 0
	.text
	.p2alignl 7, 3214868480
	.fill 96, 4, 3214868480
	.type	__hip_cuid_897819926b3cc6cb,@object ; @__hip_cuid_897819926b3cc6cb
	.section	.bss,"aw",@nobits
	.globl	__hip_cuid_897819926b3cc6cb
__hip_cuid_897819926b3cc6cb:
	.byte	0                               ; 0x0
	.size	__hip_cuid_897819926b3cc6cb, 1

	.ident	"AMD clang version 19.0.0git (https://github.com/RadeonOpenCompute/llvm-project roc-6.4.0 25133 c7fe45cf4b819c5991fe208aaa96edf142730f1d)"
	.section	".note.GNU-stack","",@progbits
	.addrsig
	.addrsig_sym __hip_cuid_897819926b3cc6cb
	.amdgpu_metadata
---
amdhsa.kernels:
  - .args:
      - .actual_access:  read_only
        .address_space:  global
        .offset:         0
        .size:           8
        .value_kind:     global_buffer
      - .offset:         8
        .size:           8
        .value_kind:     by_value
      - .actual_access:  read_only
        .address_space:  global
        .offset:         16
        .size:           8
        .value_kind:     global_buffer
      - .actual_access:  read_only
        .address_space:  global
        .offset:         24
        .size:           8
        .value_kind:     global_buffer
      - .offset:         32
        .size:           8
        .value_kind:     by_value
      - .actual_access:  read_only
        .address_space:  global
        .offset:         40
        .size:           8
        .value_kind:     global_buffer
      - .actual_access:  read_only
        .address_space:  global
        .offset:         48
        .size:           8
        .value_kind:     global_buffer
      - .offset:         56
        .size:           4
        .value_kind:     by_value
      - .actual_access:  read_only
        .address_space:  global
        .offset:         64
        .size:           8
        .value_kind:     global_buffer
      - .actual_access:  read_only
        .address_space:  global
        .offset:         72
        .size:           8
        .value_kind:     global_buffer
      - .address_space:  global
        .offset:         80
        .size:           8
        .value_kind:     global_buffer
    .group_segment_fixed_size: 0
    .kernarg_segment_align: 8
    .kernarg_segment_size: 88
    .language:       OpenCL C
    .language_version:
      - 2
      - 0
    .max_flat_workgroup_size: 55
    .name:           fft_rtc_fwd_len550_factors_11_10_5_wgs_55_tpt_55_half_ip_CI_unitstride_sbrr_R2C_dirReg
    .private_segment_fixed_size: 0
    .sgpr_count:     34
    .sgpr_spill_count: 0
    .symbol:         fft_rtc_fwd_len550_factors_11_10_5_wgs_55_tpt_55_half_ip_CI_unitstride_sbrr_R2C_dirReg.kd
    .uniform_work_group_size: 1
    .uses_dynamic_stack: false
    .vgpr_count:     76
    .vgpr_spill_count: 0
    .wavefront_size: 32
    .workgroup_processor_mode: 1
amdhsa.target:   amdgcn-amd-amdhsa--gfx1201
amdhsa.version:
  - 1
  - 2
...

	.end_amdgpu_metadata
